;; amdgpu-corpus repo=zjin-lcf/HeCBench kind=compiled arch=gfx1201 opt=O3
	.amdgcn_target "amdgcn-amd-amdhsa--gfx1201"
	.amdhsa_code_object_version 6
	.text
	.protected	_Z14kernelGuidancePK15HIP_vector_typeIhLj3EEPS0_6Params ; -- Begin function _Z14kernelGuidancePK15HIP_vector_typeIhLj3EEPS0_6Params
	.globl	_Z14kernelGuidancePK15HIP_vector_typeIhLj3EEPS0_6Params
	.p2align	8
	.type	_Z14kernelGuidancePK15HIP_vector_typeIhLj3EEPS0_6Params,@function
_Z14kernelGuidancePK15HIP_vector_typeIhLj3EEPS0_6Params: ; @_Z14kernelGuidancePK15HIP_vector_typeIhLj3EEPS0_6Params
; %bb.0:
	s_load_b32 s8, s[0:1], 0x10
	v_lshrrev_b32_e32 v1, 5, v0
	s_mov_b32 s2, exec_lo
	s_delay_alu instid0(VALU_DEP_1) | instskip(SKIP_1) | instid1(VALU_DEP_1)
	v_lshl_add_u32 v1, ttmp9, 2, v1
	s_wait_kmcnt 0x0
	v_cmpx_gt_u32_e64 s8, v1
	s_cbranch_execz .LBB0_8
; %bb.1:
	s_load_b32 s2, s[0:1], 0x14
	s_wait_kmcnt 0x0
	s_cmp_ge_u32 ttmp7, s2
	s_cbranch_scc1 .LBB0_8
; %bb.2:
	s_add_nc_u64 s[2:3], s[0:1], 16
	v_cvt_f32_u32_e32 v3, v1
	s_load_b128 s[4:7], s[2:3], 0x8
	v_add_nc_u32_e32 v2, 1, v1
	s_add_co_i32 s2, ttmp7, 1
	s_cvt_f32_u32 s3, ttmp7
	s_cvt_f32_u32 s2, s2
	v_dual_mov_b32 v15, 0 :: v_dual_and_b32 v8, 31, v0
	v_mov_b32_e32 v14, 0
	s_mov_b32 s10, 0
	s_mov_b32 s9, exec_lo
	s_wait_kmcnt 0x0
	v_mul_f32_e32 v3, s6, v3
	v_cvt_f32_u32_e32 v2, v2
	s_mul_f32 s3, s7, s3
	s_mul_f32 s2, s7, s2
	s_cvt_f32_u32 s7, s5
	s_delay_alu instid0(VALU_DEP_1)
	v_dual_max_num_f32 v9, 0, v3 :: v_dual_mul_f32 v2, s6, v2
	s_cvt_f32_u32 s6, s4
	s_max_num_f32 s5, s3, 0
	s_wait_alu 0xfffe
	s_delay_alu instid0(VALU_DEP_1) | instid1(SALU_CYCLE_1)
	v_min_num_f32_e32 v10, s6, v2
	v_floor_f32_e32 v2, v9
	s_min_num_f32 s6, s2, s7
	s_floor_f32 s2, s5
	s_delay_alu instid0(VALU_DEP_2)
	v_ceil_f32_e32 v3, v10
	s_wait_alu 0xfffe
	s_ceil_f32 s3, s6
	v_cvt_u32_f32_e32 v11, v2
	s_cvt_u32_f32 s7, s2
	v_mov_b32_e32 v2, 0
	v_cvt_u32_f32_e32 v4, v3
	s_cvt_u32_f32 s2, s3
	v_mov_b32_e32 v3, 0
	s_wait_alu 0xfffe
	s_delay_alu instid0(SALU_CYCLE_1) | instskip(SKIP_1) | instid1(VALU_DEP_1)
	s_sub_co_i32 s2, s2, s7
	v_sub_nc_u32_e32 v12, v4, v11
	v_mul_lo_u32 v13, s2, v12
	s_delay_alu instid0(VALU_DEP_1)
	v_cmpx_lt_u32_e64 v8, v13
	s_cbranch_execz .LBB0_6
; %bb.3:
	v_cvt_f32_u32_e32 v2, v12
	v_sub_nc_u32_e32 v16, 0, v12
	s_load_b64 s[2:3], s[0:1], 0x0
	v_sub_nc_u32_e32 v17, v11, v4
	s_delay_alu instid0(VALU_DEP_3) | instskip(NEXT) | instid1(TRANS32_DEP_1)
	v_rcp_iflag_f32_e32 v2, v2
	v_mul_f32_e32 v2, 0x4f7ffffe, v2
	s_delay_alu instid0(VALU_DEP_1) | instskip(NEXT) | instid1(VALU_DEP_1)
	v_cvt_u32_f32_e32 v2, v2
	v_mul_lo_u32 v3, v16, v2
	s_delay_alu instid0(VALU_DEP_1) | instskip(NEXT) | instid1(VALU_DEP_1)
	v_mul_hi_u32 v3, v2, v3
	v_dual_mov_b32 v3, 0 :: v_dual_add_nc_u32 v2, v2, v3
	s_delay_alu instid0(VALU_DEP_1) | instskip(NEXT) | instid1(VALU_DEP_1)
	v_dual_mov_b32 v15, v3 :: v_dual_and_b32 v0, 31, v0
	v_mad_co_u64_u32 v[4:5], null, v2, v0, 0
	v_lshlrev_b64_e32 v[6:7], 5, v[2:3]
	v_mov_b32_e32 v2, v3
	v_mov_b32_e32 v14, v3
	;; [unrolled: 1-line block ×3, first 2 shown]
.LBB0_4:                                ; =>This Inner Loop Header: Depth=1
	s_delay_alu instid0(VALU_DEP_1) | instskip(NEXT) | instid1(VALU_DEP_1)
	v_mad_co_u64_u32 v[18:19], null, v16, v5, v[0:1]
	v_cmp_ge_u32_e32 vcc_lo, v18, v12
	v_add_nc_u32_e32 v20, v18, v17
	s_wait_alu 0xfffd
	s_delay_alu instid0(VALU_DEP_1) | instskip(NEXT) | instid1(VALU_DEP_1)
	v_dual_cndmask_b32 v18, v18, v20 :: v_dual_add_nc_u32 v19, 1, v5
	v_cndmask_b32_e32 v19, v5, v19, vcc_lo
	s_delay_alu instid0(VALU_DEP_2) | instskip(NEXT) | instid1(VALU_DEP_2)
	v_cmp_ge_u32_e32 vcc_lo, v18, v12
	v_add_nc_u32_e32 v20, 1, v19
	s_wait_alu 0xfffd
	s_delay_alu instid0(VALU_DEP_1) | instskip(SKIP_3) | instid1(VALU_DEP_3)
	v_cndmask_b32_e32 v18, v19, v20, vcc_lo
	v_add_co_u32 v4, vcc_lo, v4, v6
	s_wait_alu 0xfffd
	v_add_co_ci_u32_e64 v5, null, v5, v7, vcc_lo
	v_mul_lo_u32 v19, v16, v18
	v_add_nc_u32_e32 v21, s7, v18
	s_delay_alu instid0(VALU_DEP_2) | instskip(NEXT) | instid1(VALU_DEP_1)
	v_add3_u32 v18, v11, v0, v19
	v_mad_co_u64_u32 v[19:20], null, v21, s4, v[18:19]
	v_cvt_f32_u32_e32 v18, v18
	s_delay_alu instid0(VALU_DEP_1) | instskip(SKIP_1) | instid1(VALU_DEP_3)
	v_dual_add_f32 v24, 1.0, v18 :: v_dual_sub_f32 v25, v18, v9
	s_wait_kmcnt 0x0
	v_mad_co_u64_u32 v[19:20], null, v19, 3, s[2:3]
	v_cmp_gt_f32_e32 vcc_lo, v9, v18
	s_delay_alu instid0(VALU_DEP_3)
	v_dual_sub_f32 v26, v10, v24 :: v_dual_add_f32 v25, 1.0, v25
	s_clause 0x1
	global_load_u16 v22, v[19:20], off
	global_load_u8 v19, v[19:20], off offset:2
	v_cvt_f32_u32_e32 v20, v21
	s_wait_alu 0xfffd
	v_dual_add_f32 v18, 1.0, v26 :: v_dual_cndmask_b32 v25, 1.0, v25
	v_cmp_gt_f32_e32 vcc_lo, v24, v10
	s_delay_alu instid0(VALU_DEP_3) | instskip(SKIP_1) | instid1(VALU_DEP_3)
	v_subrev_f32_e32 v21, s5, v20
	s_wait_alu 0xfffd
	v_dual_add_f32 v23, 1.0, v20 :: v_dual_cndmask_b32 v18, 1.0, v18
	v_cmp_gt_f32_e32 vcc_lo, s5, v20
	s_delay_alu instid0(VALU_DEP_2) | instskip(NEXT) | instid1(VALU_DEP_3)
	v_dual_add_f32 v21, 1.0, v21 :: v_dual_sub_f32 v24, s6, v23
	v_mul_f32_e32 v18, v25, v18
	s_delay_alu instid0(VALU_DEP_1) | instskip(SKIP_1) | instid1(VALU_DEP_1)
	v_dual_add_f32 v24, 1.0, v24 :: v_dual_mul_f32 v21, v21, v18
	s_wait_alu 0xfffd
	v_cndmask_b32_e32 v18, v18, v21, vcc_lo
	v_cmp_lt_f32_e32 vcc_lo, s6, v23
	s_delay_alu instid0(VALU_DEP_2) | instskip(SKIP_1) | instid1(VALU_DEP_1)
	v_mul_f32_e32 v20, v24, v18
	s_wait_alu 0xfffd
	v_cndmask_b32_e32 v18, v18, v20, vcc_lo
	s_delay_alu instid0(VALU_DEP_1) | instskip(NEXT) | instid1(VALU_DEP_1)
	v_dual_add_f32 v15, v15, v18 :: v_dual_add_nc_u32 v0, 32, v0
	v_cmp_ge_u32_e32 vcc_lo, v0, v13
	s_or_b32 s10, vcc_lo, s10
	s_wait_loadcnt 0x1
	v_cvt_f32_ubyte0_e32 v20, v22
	v_cvt_f32_ubyte1_e32 v21, v22
	s_wait_loadcnt 0x0
	v_cvt_f32_ubyte0_e32 v19, v19
	s_delay_alu instid0(VALU_DEP_3) | instskip(NEXT) | instid1(VALU_DEP_3)
	v_fmac_f32_e32 v3, v18, v20
	v_fmac_f32_e32 v2, v18, v21
	s_delay_alu instid0(VALU_DEP_3)
	v_fmac_f32_e32 v14, v18, v19
	s_and_not1_b32 exec_lo, exec_lo, s10
	s_cbranch_execnz .LBB0_4
; %bb.5:
	s_or_b32 exec_lo, exec_lo, s10
.LBB0_6:
	s_delay_alu instid0(SALU_CYCLE_1) | instskip(SKIP_2) | instid1(VALU_DEP_1)
	s_or_b32 exec_lo, exec_lo, s9
	v_mbcnt_lo_u32_b32 v0, -1, 0
	s_load_b64 s[2:3], s[0:1], 0x8
	v_lshl_or_b32 v4, v0, 2, 64
	v_cmp_lt_u32_e32 vcc_lo, 23, v0
	ds_bpermute_b32 v5, v4, v3
	ds_bpermute_b32 v6, v4, v2
	ds_bpermute_b32 v7, v4, v14
	ds_bpermute_b32 v4, v4, v15
	s_wait_alu 0xfffd
	v_cndmask_b32_e64 v9, 8, 0, vcc_lo
	v_cmp_lt_u32_e32 vcc_lo, 27, v0
	s_delay_alu instid0(VALU_DEP_2) | instskip(SKIP_3) | instid1(VALU_DEP_2)
	v_add_lshl_u32 v9, v9, v0, 2
	s_wait_alu 0xfffd
	v_cndmask_b32_e64 v11, 4, 0, vcc_lo
	v_cmp_lt_u32_e32 vcc_lo, 29, v0
	v_add_lshl_u32 v11, v11, v0, 2
	s_wait_dscnt 0x2
	v_dual_add_f32 v3, v3, v5 :: v_dual_add_f32 v2, v2, v6
	s_wait_dscnt 0x0
	v_dual_add_f32 v5, v14, v7 :: v_dual_add_f32 v4, v15, v4
	ds_bpermute_b32 v6, v9, v3
	ds_bpermute_b32 v7, v9, v2
	ds_bpermute_b32 v10, v9, v5
	ds_bpermute_b32 v9, v9, v4
	s_wait_dscnt 0x2
	v_dual_add_f32 v3, v3, v6 :: v_dual_add_f32 v2, v2, v7
	s_wait_dscnt 0x0
	v_dual_add_f32 v5, v5, v10 :: v_dual_add_f32 v4, v4, v9
	ds_bpermute_b32 v6, v11, v3
	ds_bpermute_b32 v7, v11, v2
	;; [unrolled: 1-line block ×4, first 2 shown]
	s_wait_alu 0xfffd
	v_cndmask_b32_e64 v11, 2, 0, vcc_lo
	v_cmp_ne_u32_e32 vcc_lo, 31, v0
	s_delay_alu instid0(VALU_DEP_2)
	v_add_lshl_u32 v11, v11, v0, 2
	s_wait_alu 0xfffd
	v_add_co_ci_u32_e64 v0, null, 0, v0, vcc_lo
	v_cmp_eq_u32_e32 vcc_lo, 0, v8
	s_wait_dscnt 0x2
	v_dual_add_f32 v3, v3, v6 :: v_dual_add_f32 v2, v2, v7
	s_wait_dscnt 0x0
	v_dual_add_f32 v5, v5, v9 :: v_dual_add_f32 v4, v4, v10
	ds_bpermute_b32 v6, v11, v3
	ds_bpermute_b32 v7, v11, v2
	ds_bpermute_b32 v9, v11, v5
	ds_bpermute_b32 v10, v11, v4
	s_wait_dscnt 0x3
	v_dual_add_f32 v0, v3, v6 :: v_dual_lshlrev_b32 v11, 2, v0
	s_wait_dscnt 0x1
	v_dual_add_f32 v2, v2, v7 :: v_dual_add_f32 v3, v5, v9
	s_wait_dscnt 0x0
	v_add_f32_e32 v7, v4, v10
	ds_bpermute_b32 v4, v11, v0
	ds_bpermute_b32 v5, v11, v2
	;; [unrolled: 1-line block ×4, first 2 shown]
	s_and_b32 exec_lo, exec_lo, vcc_lo
	s_cbranch_execz .LBB0_8
; %bb.7:
	s_wait_dscnt 0x0
	v_dual_add_f32 v7, v7, v9 :: v_dual_add_f32 v4, v0, v4
	v_dual_add_f32 v2, v2, v5 :: v_dual_add_f32 v3, v3, v6
	s_delay_alu instid0(VALU_DEP_2) | instskip(NEXT) | instid1(VALU_DEP_2)
	v_div_scale_f32 v5, null, v7, v7, v4
	v_div_scale_f32 v6, null, v7, v7, v2
	s_delay_alu instid0(VALU_DEP_3) | instskip(NEXT) | instid1(VALU_DEP_3)
	v_div_scale_f32 v8, null, v7, v7, v3
	v_rcp_f32_e32 v9, v5
	s_delay_alu instid0(VALU_DEP_2) | instskip(SKIP_1) | instid1(VALU_DEP_2)
	v_rcp_f32_e32 v10, v6
	v_div_scale_f32 v12, vcc_lo, v4, v7, v4
	v_rcp_f32_e32 v11, v8
	v_div_scale_f32 v13, s0, v2, v7, v2
	v_div_scale_f32 v16, s1, v3, v7, v3
	s_delay_alu instid0(TRANS32_DEP_3) | instskip(NEXT) | instid1(TRANS32_DEP_2)
	v_fma_f32 v0, -v5, v9, 1.0
	v_fma_f32 v14, -v6, v10, 1.0
	s_delay_alu instid0(TRANS32_DEP_1) | instskip(NEXT) | instid1(VALU_DEP_2)
	v_fma_f32 v15, -v8, v11, 1.0
	v_dual_fmac_f32 v9, v0, v9 :: v_dual_fmac_f32 v10, v14, v10
	s_delay_alu instid0(VALU_DEP_1) | instskip(NEXT) | instid1(VALU_DEP_1)
	v_dual_fmac_f32 v11, v15, v11 :: v_dual_mul_f32 v14, v12, v9
	v_mul_f32_e32 v17, v16, v11
	s_delay_alu instid0(VALU_DEP_2) | instskip(NEXT) | instid1(VALU_DEP_4)
	v_fma_f32 v0, -v5, v14, v12
	v_mul_f32_e32 v15, v13, v10
	s_delay_alu instid0(VALU_DEP_3) | instskip(NEXT) | instid1(VALU_DEP_3)
	v_fma_f32 v19, -v8, v17, v16
	v_fmac_f32_e32 v14, v0, v9
	s_delay_alu instid0(VALU_DEP_3)
	v_fma_f32 v18, -v6, v15, v13
	s_wait_alu 0xf1ff
	v_mad_co_u64_u32 v[0:1], null, s8, ttmp7, v[1:2]
	v_fmac_f32_e32 v17, v19, v11
	v_fma_f32 v1, -v5, v14, v12
	v_fmac_f32_e32 v15, v18, v10
	s_wait_alu 0xfffd
	s_delay_alu instid0(VALU_DEP_2) | instskip(NEXT) | instid1(VALU_DEP_2)
	v_div_fmas_f32 v1, v1, v9, v14
	v_fma_f32 v5, -v6, v15, v13
	s_mov_b32 vcc_lo, s0
	v_fma_f32 v6, -v8, v17, v16
	s_delay_alu instid0(VALU_DEP_3)
	v_div_fixup_f32 v1, v1, v7, v4
	s_wait_alu 0xfffe
	v_div_fmas_f32 v5, v5, v10, v15
	s_mov_b32 vcc_lo, s1
	s_wait_alu 0xfffe
	v_div_fmas_f32 v6, v6, v11, v17
	v_cvt_i32_f32_e32 v4, v1
	v_div_fixup_f32 v2, v5, v7, v2
	s_wait_kmcnt 0x0
	v_mad_co_u64_u32 v[0:1], null, v0, 3, s[2:3]
	v_div_fixup_f32 v3, v6, v7, v3
	s_delay_alu instid0(VALU_DEP_3) | instskip(NEXT) | instid1(VALU_DEP_2)
	v_cvt_i32_f32_e32 v2, v2
	v_cvt_i32_f32_e32 v3, v3
	s_delay_alu instid0(VALU_DEP_2)
	v_lshl_or_b32 v2, v2, 8, v4
	s_clause 0x1
	global_store_b8 v[0:1], v3, off offset:2
	global_store_b16 v[0:1], v2, off
.LBB0_8:
	s_endpgm
	.section	.rodata,"a",@progbits
	.p2align	6, 0x0
	.amdhsa_kernel _Z14kernelGuidancePK15HIP_vector_typeIhLj3EEPS0_6Params
		.amdhsa_group_segment_fixed_size 0
		.amdhsa_private_segment_fixed_size 0
		.amdhsa_kernarg_size 48
		.amdhsa_user_sgpr_count 2
		.amdhsa_user_sgpr_dispatch_ptr 0
		.amdhsa_user_sgpr_queue_ptr 0
		.amdhsa_user_sgpr_kernarg_segment_ptr 1
		.amdhsa_user_sgpr_dispatch_id 0
		.amdhsa_user_sgpr_private_segment_size 0
		.amdhsa_wavefront_size32 1
		.amdhsa_uses_dynamic_stack 0
		.amdhsa_enable_private_segment 0
		.amdhsa_system_sgpr_workgroup_id_x 1
		.amdhsa_system_sgpr_workgroup_id_y 1
		.amdhsa_system_sgpr_workgroup_id_z 0
		.amdhsa_system_sgpr_workgroup_info 0
		.amdhsa_system_vgpr_workitem_id 0
		.amdhsa_next_free_vgpr 27
		.amdhsa_next_free_sgpr 11
		.amdhsa_reserve_vcc 1
		.amdhsa_float_round_mode_32 0
		.amdhsa_float_round_mode_16_64 0
		.amdhsa_float_denorm_mode_32 3
		.amdhsa_float_denorm_mode_16_64 3
		.amdhsa_fp16_overflow 0
		.amdhsa_workgroup_processor_mode 1
		.amdhsa_memory_ordered 1
		.amdhsa_forward_progress 1
		.amdhsa_inst_pref_size 12
		.amdhsa_round_robin_scheduling 0
		.amdhsa_exception_fp_ieee_invalid_op 0
		.amdhsa_exception_fp_denorm_src 0
		.amdhsa_exception_fp_ieee_div_zero 0
		.amdhsa_exception_fp_ieee_overflow 0
		.amdhsa_exception_fp_ieee_underflow 0
		.amdhsa_exception_fp_ieee_inexact 0
		.amdhsa_exception_int_div_zero 0
	.end_amdhsa_kernel
	.text
.Lfunc_end0:
	.size	_Z14kernelGuidancePK15HIP_vector_typeIhLj3EEPS0_6Params, .Lfunc_end0-_Z14kernelGuidancePK15HIP_vector_typeIhLj3EEPS0_6Params
                                        ; -- End function
	.set _Z14kernelGuidancePK15HIP_vector_typeIhLj3EEPS0_6Params.num_vgpr, 27
	.set _Z14kernelGuidancePK15HIP_vector_typeIhLj3EEPS0_6Params.num_agpr, 0
	.set _Z14kernelGuidancePK15HIP_vector_typeIhLj3EEPS0_6Params.numbered_sgpr, 11
	.set _Z14kernelGuidancePK15HIP_vector_typeIhLj3EEPS0_6Params.num_named_barrier, 0
	.set _Z14kernelGuidancePK15HIP_vector_typeIhLj3EEPS0_6Params.private_seg_size, 0
	.set _Z14kernelGuidancePK15HIP_vector_typeIhLj3EEPS0_6Params.uses_vcc, 1
	.set _Z14kernelGuidancePK15HIP_vector_typeIhLj3EEPS0_6Params.uses_flat_scratch, 0
	.set _Z14kernelGuidancePK15HIP_vector_typeIhLj3EEPS0_6Params.has_dyn_sized_stack, 0
	.set _Z14kernelGuidancePK15HIP_vector_typeIhLj3EEPS0_6Params.has_recursion, 0
	.set _Z14kernelGuidancePK15HIP_vector_typeIhLj3EEPS0_6Params.has_indirect_call, 0
	.section	.AMDGPU.csdata,"",@progbits
; Kernel info:
; codeLenInByte = 1520
; TotalNumSgprs: 13
; NumVgprs: 27
; ScratchSize: 0
; MemoryBound: 0
; FloatMode: 240
; IeeeMode: 1
; LDSByteSize: 0 bytes/workgroup (compile time only)
; SGPRBlocks: 0
; VGPRBlocks: 3
; NumSGPRsForWavesPerEU: 13
; NumVGPRsForWavesPerEU: 27
; Occupancy: 16
; WaveLimiterHint : 0
; COMPUTE_PGM_RSRC2:SCRATCH_EN: 0
; COMPUTE_PGM_RSRC2:USER_SGPR: 2
; COMPUTE_PGM_RSRC2:TRAP_HANDLER: 0
; COMPUTE_PGM_RSRC2:TGID_X_EN: 1
; COMPUTE_PGM_RSRC2:TGID_Y_EN: 1
; COMPUTE_PGM_RSRC2:TGID_Z_EN: 0
; COMPUTE_PGM_RSRC2:TIDIG_COMP_CNT: 0
	.text
	.protected	_Z18kernelDownsamplingPK15HIP_vector_typeIhLj3EES2_6ParamsPS0_ ; -- Begin function _Z18kernelDownsamplingPK15HIP_vector_typeIhLj3EES2_6ParamsPS0_
	.globl	_Z18kernelDownsamplingPK15HIP_vector_typeIhLj3EES2_6ParamsPS0_
	.p2align	8
	.type	_Z18kernelDownsamplingPK15HIP_vector_typeIhLj3EES2_6ParamsPS0_,@function
_Z18kernelDownsamplingPK15HIP_vector_typeIhLj3EES2_6ParamsPS0_: ; @_Z18kernelDownsamplingPK15HIP_vector_typeIhLj3EES2_6ParamsPS0_
; %bb.0:
	s_load_b128 s[4:7], s[0:1], 0x10
	v_lshrrev_b32_e32 v2, 5, v0
	s_lshl_b32 s11, ttmp9, 2
	s_mov_b32 s2, exec_lo
	s_delay_alu instid0(VALU_DEP_1) | instskip(SKIP_1) | instid1(VALU_DEP_1)
	v_add_nc_u32_e32 v1, s11, v2
	s_wait_kmcnt 0x0
	v_cmpx_gt_u32_e64 s4, v1
	s_cbranch_execz .LBB1_38
; %bb.1:
	s_load_b96 s[8:10], s[0:1], 0x20
	s_cmp_ge_u32 ttmp7, s5
	s_cbranch_scc1 .LBB1_38
; %bb.2:
	s_load_b64 s[2:3], s[0:1], 0x8
	v_sub_nc_u32_e32 v7, 0, v2
	v_add_nc_u32_e32 v4, 1, v1
	s_cmp_eq_u32 ttmp7, 0
	s_delay_alu instid0(VALU_DEP_2)
	v_cmp_ne_u32_e32 vcc_lo, s11, v7
	s_cbranch_scc1 .LBB1_10
; %bb.3:
                                        ; implicit-def: $vgpr3
                                        ; implicit-def: $vgpr2
                                        ; implicit-def: $sgpr13
	s_and_saveexec_b32 s12, vcc_lo
	s_delay_alu instid0(SALU_CYCLE_1)
	s_xor_b32 s12, exec_lo, s12
                                        ; implicit-def: $vgpr6
	s_cbranch_execz .LBB1_5
; %bb.4:
	s_add_co_i32 s13, ttmp7, -1
	s_delay_alu instid0(SALU_CYCLE_1) | instskip(NEXT) | instid1(SALU_CYCLE_1)
	s_mul_i32 s13, s4, s13
	v_add3_u32 v2, v1, s13, -1
	s_wait_kmcnt 0x0
	s_delay_alu instid0(VALU_DEP_1)
	v_mad_co_u64_u32 v[2:3], null, v2, 3, s[2:3]
	s_clause 0x1
	global_load_u16 v5, v[2:3], off
	global_load_u8 v2, v[2:3], off offset:2
	s_wait_loadcnt 0x1
	v_cvt_f32_ubyte0_e32 v6, v5
	v_cvt_f32_ubyte1_e32 v3, v5
	s_wait_loadcnt 0x0
	v_cvt_f32_ubyte0_e32 v2, v2
.LBB1_5:
	s_or_saveexec_b32 s12, s12
	v_dual_mov_b32 v5, 0x40400000 :: v_dual_mov_b32 v8, s13
	s_wait_alu 0xfffe
	s_xor_b32 exec_lo, exec_lo, s12
; %bb.6:
	v_dual_mov_b32 v2, 0 :: v_dual_mov_b32 v5, 2.0
	s_add_co_i32 s13, ttmp7, -1
	v_mov_b32_e32 v6, 0
	s_wait_alu 0xfffe
	s_mul_i32 s13, s4, s13
	s_wait_alu 0xfffe
	v_dual_mov_b32 v3, v2 :: v_dual_mov_b32 v8, s13
; %bb.7:
	s_or_b32 exec_lo, exec_lo, s12
	s_delay_alu instid0(VALU_DEP_1) | instskip(SKIP_2) | instid1(VALU_DEP_1)
	v_add_nc_u32_e32 v9, v8, v1
	s_mov_b32 s12, exec_lo
	s_wait_kmcnt 0x0
	v_mad_co_u64_u32 v[9:10], null, v9, 3, s[2:3]
	s_clause 0x1
	global_load_u16 v11, v[9:10], off
	global_load_u8 v9, v[9:10], off offset:2
	s_wait_loadcnt 0x1
	v_cvt_f32_ubyte1_e32 v10, v11
	v_cvt_f32_ubyte0_e32 v11, v11
	s_wait_loadcnt 0x0
	v_cvt_f32_ubyte0_e32 v9, v9
	s_delay_alu instid0(VALU_DEP_2) | instskip(NEXT) | instid1(VALU_DEP_2)
	v_dual_fmac_f32 v3, 2.0, v10 :: v_dual_fmac_f32 v6, 2.0, v11
	v_fmac_f32_e32 v2, 2.0, v9
	v_cmpx_gt_u32_e64 s4, v4
	s_cbranch_execz .LBB1_9
; %bb.8:
	v_dual_add_f32 v5, 1.0, v5 :: v_dual_add_nc_u32 v8, v8, v4
	s_delay_alu instid0(VALU_DEP_1)
	v_mad_co_u64_u32 v[8:9], null, v8, 3, s[2:3]
	s_clause 0x1
	global_load_u16 v10, v[8:9], off
	global_load_u8 v8, v[8:9], off offset:2
	s_wait_loadcnt 0x1
	v_cvt_f32_ubyte1_e32 v9, v10
	v_cvt_f32_ubyte0_e32 v10, v10
	s_wait_loadcnt 0x0
	v_cvt_f32_ubyte0_e32 v8, v8
	s_delay_alu instid0(VALU_DEP_2) | instskip(NEXT) | instid1(VALU_DEP_2)
	v_dual_add_f32 v3, v3, v9 :: v_dual_add_f32 v6, v6, v10
	v_add_f32_e32 v2, v2, v8
.LBB1_9:
	s_wait_alu 0xfffe
	s_or_b32 exec_lo, exec_lo, s12
	s_branch .LBB1_11
.LBB1_10:
	v_mov_b32_e32 v6, 0
	s_delay_alu instid0(VALU_DEP_1)
	v_dual_mov_b32 v3, v6 :: v_dual_mov_b32 v2, v6
	v_mov_b32_e32 v5, v6
.LBB1_11:
	s_clause 0x1
	s_load_b64 s[14:15], s[0:1], 0x0
	s_load_b64 s[12:13], s[0:1], 0x30
	v_cmp_ne_u32_e32 vcc_lo, s11, v7
	s_mul_i32 s0, s4, ttmp7
	s_and_saveexec_b32 s1, vcc_lo
	s_delay_alu instid0(SALU_CYCLE_1)
	s_xor_b32 s1, exec_lo, s1
	s_cbranch_execz .LBB1_13
; %bb.12:
	v_add3_u32 v7, v1, s0, -1
	v_add_f32_e32 v5, 2.0, v5
	s_wait_kmcnt 0x0
	s_delay_alu instid0(VALU_DEP_2)
	v_mad_co_u64_u32 v[7:8], null, v7, 3, s[2:3]
	s_clause 0x1
	global_load_u16 v9, v[7:8], off
	global_load_u8 v7, v[7:8], off offset:2
	s_wait_loadcnt 0x1
	v_cvt_f32_ubyte1_e32 v8, v9
	v_cvt_f32_ubyte0_e32 v9, v9
	s_wait_loadcnt 0x0
	v_cvt_f32_ubyte0_e32 v7, v7
	s_delay_alu instid0(VALU_DEP_3) | instskip(NEXT) | instid1(VALU_DEP_3)
	v_fma_f32 v3, 2.0, v8, v3
	v_fmac_f32_e32 v6, 2.0, v9
	s_delay_alu instid0(VALU_DEP_3)
	v_fmac_f32_e32 v2, 2.0, v7
.LBB1_13:
	s_or_saveexec_b32 s1, s1
	v_mov_b32_e32 v7, s0
	s_wait_alu 0xfffe
	s_xor_b32 exec_lo, exec_lo, s1
; %bb.14:
	v_mov_b32_e32 v7, s0
; %bb.15:
	s_or_b32 exec_lo, exec_lo, s1
	s_delay_alu instid0(VALU_DEP_1) | instskip(SKIP_2) | instid1(VALU_DEP_2)
	v_add_nc_u32_e32 v8, v7, v1
	v_cmp_gt_u32_e64 s0, s4, v4
	s_wait_kmcnt 0x0
	v_mad_co_u64_u32 v[8:9], null, v8, 3, s[2:3]
	s_clause 0x1
	global_load_u16 v10, v[8:9], off
	global_load_u8 v8, v[8:9], off offset:2
	s_wait_loadcnt 0x1
	v_cvt_f32_ubyte0_e32 v9, v10
	v_cvt_f32_ubyte1_e32 v10, v10
	s_wait_loadcnt 0x0
	v_cvt_f32_ubyte0_e32 v8, v8
	v_add_f32_e32 v5, 4.0, v5
	v_fma_f32 v6, 4.0, v9, v6
	s_delay_alu instid0(VALU_DEP_3)
	v_dual_fmac_f32 v3, 4.0, v10 :: v_dual_fmac_f32 v2, 4.0, v8
	s_and_saveexec_b32 s1, s0
	s_cbranch_execz .LBB1_17
; %bb.16:
	v_add_nc_u32_e32 v7, v7, v4
	v_add_f32_e32 v5, 2.0, v5
	s_delay_alu instid0(VALU_DEP_2)
	v_mad_co_u64_u32 v[7:8], null, v7, 3, s[2:3]
	s_clause 0x1
	global_load_u16 v9, v[7:8], off
	global_load_u8 v7, v[7:8], off offset:2
	s_wait_loadcnt 0x1
	v_cvt_f32_ubyte0_e32 v8, v9
	v_cvt_f32_ubyte1_e32 v9, v9
	s_wait_loadcnt 0x0
	v_cvt_f32_ubyte0_e32 v7, v7
	s_delay_alu instid0(VALU_DEP_2) | instskip(NEXT) | instid1(VALU_DEP_2)
	v_dual_fmac_f32 v6, 2.0, v8 :: v_dual_fmac_f32 v3, 2.0, v9
	v_fmac_f32_e32 v2, 2.0, v7
.LBB1_17:
	s_wait_alu 0xfffe
	s_or_b32 exec_lo, exec_lo, s1
	s_add_co_i32 s1, ttmp7, 1
	s_wait_alu 0xfffe
	s_cmp_ge_u32 s1, s5
	s_cbranch_scc1 .LBB1_25
; %bb.18:
	s_mul_i32 s5, s4, s1
	s_and_saveexec_b32 s11, vcc_lo
	s_wait_alu 0xfffe
	s_xor_b32 s11, exec_lo, s11
	s_cbranch_execz .LBB1_20
; %bb.19:
	v_add3_u32 v7, v1, s5, -1
	v_add_f32_e32 v5, 1.0, v5
	s_delay_alu instid0(VALU_DEP_2)
	v_mad_co_u64_u32 v[7:8], null, v7, 3, s[2:3]
	s_clause 0x1
	global_load_u16 v9, v[7:8], off
	global_load_u8 v7, v[7:8], off offset:2
	s_wait_loadcnt 0x1
	v_cvt_f32_ubyte0_e32 v8, v9
	v_cvt_f32_ubyte1_e32 v9, v9
	s_wait_loadcnt 0x0
	v_cvt_f32_ubyte0_e32 v7, v7
	s_delay_alu instid0(VALU_DEP_2) | instskip(NEXT) | instid1(VALU_DEP_2)
	v_dual_add_f32 v6, v6, v8 :: v_dual_add_f32 v3, v3, v9
	v_add_f32_e32 v2, v2, v7
.LBB1_20:
	s_wait_alu 0xfffe
	s_or_saveexec_b32 s11, s11
	v_mov_b32_e32 v7, s5
	s_wait_alu 0xfffe
	s_xor_b32 exec_lo, exec_lo, s11
; %bb.21:
	v_mov_b32_e32 v7, s5
; %bb.22:
	s_or_b32 exec_lo, exec_lo, s11
	s_delay_alu instid0(VALU_DEP_1) | instskip(SKIP_1) | instid1(VALU_DEP_2)
	v_add_nc_u32_e32 v8, v7, v1
	v_add_f32_e32 v5, 2.0, v5
	v_mad_co_u64_u32 v[8:9], null, v8, 3, s[2:3]
	s_clause 0x1
	global_load_u16 v10, v[8:9], off
	global_load_u8 v8, v[8:9], off offset:2
	s_wait_loadcnt 0x1
	v_cvt_f32_ubyte0_e32 v9, v10
	v_cvt_f32_ubyte1_e32 v10, v10
	s_wait_loadcnt 0x0
	v_cvt_f32_ubyte0_e32 v8, v8
	s_delay_alu instid0(VALU_DEP_2) | instskip(NEXT) | instid1(VALU_DEP_2)
	v_dual_fmac_f32 v6, 2.0, v9 :: v_dual_fmac_f32 v3, 2.0, v10
	v_fmac_f32_e32 v2, 2.0, v8
	s_and_saveexec_b32 s5, s0
	s_cbranch_execz .LBB1_24
; %bb.23:
	v_add_nc_u32_e32 v7, v7, v4
	v_add_f32_e32 v5, 1.0, v5
	s_delay_alu instid0(VALU_DEP_2)
	v_mad_co_u64_u32 v[7:8], null, v7, 3, s[2:3]
	s_clause 0x1
	global_load_u16 v9, v[7:8], off
	global_load_u8 v7, v[7:8], off offset:2
	s_wait_loadcnt 0x1
	v_cvt_f32_ubyte0_e32 v8, v9
	v_cvt_f32_ubyte1_e32 v9, v9
	s_wait_loadcnt 0x0
	v_cvt_f32_ubyte0_e32 v7, v7
	s_delay_alu instid0(VALU_DEP_2) | instskip(NEXT) | instid1(VALU_DEP_2)
	v_dual_add_f32 v6, v6, v8 :: v_dual_add_f32 v3, v3, v9
	v_add_f32_e32 v2, v2, v7
.LBB1_24:
	s_wait_alu 0xfffe
	s_or_b32 exec_lo, exec_lo, s5
.LBB1_25:
	v_cvt_f32_u32_e32 v7, v1
	v_cvt_f32_u32_e32 v4, v4
	v_div_scale_f32 v12, null, v5, v5, v2
	s_cvt_f32_u32 s0, ttmp7
	v_dual_mul_f32 v7, s8, v7 :: v_dual_mul_f32 v4, s8, v4
	v_rcp_f32_e32 v18, v12
	s_wait_alu 0xfffe
	s_mul_f32 s0, s9, s0
	s_cvt_f32_u32 s1, s1
	v_max_num_f32_e32 v11, 0, v7
	v_div_scale_f32 v7, null, v5, v5, v6
	s_cvt_f32_u32 s2, s6
	s_wait_alu 0xfffe
	s_max_num_f32 s3, s0, 0
	s_mul_f32 s0, s9, s1
	v_rcp_f32_e32 v9, v7
	s_cvt_f32_u32 s1, s7
	v_div_scale_f32 v8, null, v5, v5, v3
	v_div_scale_f32 v19, vcc_lo, v6, v5, v6
	s_wait_alu 0xfffe
	s_min_num_f32 s5, s0, s1
	v_div_scale_f32 v22, s1, v2, v5, v2
	v_min_num_f32_e32 v13, s2, v4
	s_delay_alu instid0(TRANS32_DEP_1)
	v_fma_f32 v4, -v7, v9, 1.0
	v_rcp_f32_e32 v17, v8
	s_floor_f32 s0, s3
	s_wait_alu 0xfffe
	s_ceil_f32 s2, s5
	s_mov_b32 s9, 0
	v_fmac_f32_e32 v9, v4, v9
	v_fma_f32 v4, -v12, v18, 1.0
	s_cvt_u32_f32 s7, s0
	v_div_scale_f32 v20, s0, v3, v5, v3
	s_delay_alu instid0(VALU_DEP_2)
	v_dual_mul_f32 v21, v19, v9 :: v_dual_fmac_f32 v18, v4, v18
	v_floor_f32_e32 v10, v11
	v_fma_f32 v15, -v8, v17, 1.0
	s_wait_alu 0xfffe
	s_cvt_u32_f32 s2, s2
	s_mov_b32 s8, exec_lo
	v_mul_f32_e32 v24, v22, v18
	v_cvt_u32_f32_e32 v14, v10
	v_ceil_f32_e32 v10, v13
	v_fmac_f32_e32 v17, v15, v17
	s_wait_alu 0xfffe
	s_sub_co_i32 s2, s2, s7
	s_delay_alu instid0(VALU_DEP_2) | instskip(SKIP_1) | instid1(VALU_DEP_2)
	v_cvt_u32_f32_e32 v4, v10
	v_fma_f32 v10, -v7, v21, v19
	v_sub_nc_u32_e32 v15, v4, v14
	s_delay_alu instid0(VALU_DEP_2) | instskip(SKIP_1) | instid1(VALU_DEP_2)
	v_fmac_f32_e32 v21, v10, v9
	v_fma_f32 v10, -v12, v24, v22
	v_fma_f32 v7, -v7, v21, v19
	s_delay_alu instid0(VALU_DEP_2) | instskip(NEXT) | instid1(VALU_DEP_2)
	v_dual_fmac_f32 v24, v10, v18 :: v_dual_mov_b32 v19, 0
	v_div_fmas_f32 v7, v7, v9, v21
	s_delay_alu instid0(VALU_DEP_2) | instskip(SKIP_2) | instid1(VALU_DEP_1)
	v_fma_f32 v9, -v12, v24, v22
	v_dual_mul_f32 v23, v20, v17 :: v_dual_and_b32 v12, 31, v0
	s_mov_b32 vcc_lo, s0
	v_fma_f32 v16, -v8, v23, v20
	s_delay_alu instid0(VALU_DEP_1) | instskip(SKIP_2) | instid1(VALU_DEP_2)
	v_fmac_f32_e32 v23, v16, v17
	s_wait_alu 0xfffe
	v_mul_lo_u32 v16, s2, v15
	v_fma_f32 v8, -v8, v23, v20
	s_delay_alu instid0(VALU_DEP_1)
	v_div_fmas_f32 v10, v8, v17, v23
	s_mov_b32 vcc_lo, s1
	v_div_fixup_f32 v8, v7, v5, v6
	s_wait_alu 0xfffe
	v_div_fmas_f32 v17, v9, v18, v24
	v_mov_b32_e32 v18, 0
	v_div_fixup_f32 v9, v10, v5, v3
	v_mov_b32_e32 v3, 0
	s_delay_alu instid0(VALU_DEP_4)
	v_div_fixup_f32 v10, v17, v5, v2
	v_mov_b32_e32 v17, 0
	v_cmpx_lt_u32_e64 v12, v16
	s_cbranch_execz .LBB1_32
; %bb.26:
	v_cvt_f32_u32_e32 v2, v15
	v_sub_nc_u32_e32 v20, 0, v15
	s_cmp_eq_f32 s10, 0
	v_sub_nc_u32_e32 v21, v14, v4
	s_mov_b32 s17, 0x3e76c4e1
	v_rcp_iflag_f32_e32 v2, v2
	s_cselect_b32 s11, -1, 0
	s_cmp_neq_f32 s10, 0
	s_cselect_b32 s0, -1, 0
	s_cmp_neq_f32 s10, 1.0
	s_delay_alu instid0(TRANS32_DEP_1) | instskip(SKIP_3) | instid1(VALU_DEP_1)
	v_mul_f32_e32 v2, 0x4f7ffffe, v2
	s_cselect_b32 s1, -1, 0
	s_wait_alu 0xfffe
	s_and_b32 s16, s0, s1
	v_cvt_u32_f32_e32 v2, v2
	s_delay_alu instid0(VALU_DEP_1) | instskip(NEXT) | instid1(VALU_DEP_1)
	v_mul_lo_u32 v3, v20, v2
	v_mul_hi_u32 v5, v2, v3
	v_dual_mov_b32 v3, 0 :: v_dual_and_b32 v0, 31, v0
	s_delay_alu instid0(VALU_DEP_1) | instskip(NEXT) | instid1(VALU_DEP_3)
	v_dual_mov_b32 v17, v3 :: v_dual_mov_b32 v18, v3
	v_dual_mov_b32 v19, v3 :: v_dual_add_nc_u32 v2, v2, v5
	s_delay_alu instid0(VALU_DEP_1)
	v_mad_co_u64_u32 v[4:5], null, v2, v0, 0
	v_lshlrev_b64_e32 v[6:7], 5, v[2:3]
	v_mov_b32_e32 v0, v12
	s_branch .LBB1_29
.LBB1_27:                               ;   in Loop: Header=BB1_29 Depth=1
	s_delay_alu instid0(VALU_DEP_1) | instskip(SKIP_1) | instid1(VALU_DEP_2)
	v_frexp_mant_f32_e64 v27, |v26|
	v_cmp_lt_f32_e64 s18, |v26|, 1.0
	v_cmp_gt_f32_e32 vcc_lo, 0x3f2aaaab, v27
	s_wait_alu 0xfffd
	v_cndmask_b32_e64 v28, 1.0, 2.0, vcc_lo
	s_delay_alu instid0(VALU_DEP_1) | instskip(NEXT) | instid1(VALU_DEP_1)
	v_mul_f32_e32 v27, v27, v28
	v_add_f32_e32 v30, -1.0, v27
	v_add_f32_e32 v28, 1.0, v27
	s_delay_alu instid0(VALU_DEP_1) | instskip(NEXT) | instid1(TRANS32_DEP_1)
	v_rcp_f32_e32 v29, v28
	v_dual_mul_f32 v31, v30, v29 :: v_dual_add_f32 v32, -1.0, v28
	s_delay_alu instid0(VALU_DEP_1) | instskip(NEXT) | instid1(VALU_DEP_2)
	v_mul_f32_e32 v33, v28, v31
	v_sub_f32_e32 v27, v27, v32
	s_delay_alu instid0(VALU_DEP_2) | instskip(NEXT) | instid1(VALU_DEP_1)
	v_fma_f32 v28, v31, v28, -v33
	v_fmac_f32_e32 v28, v31, v27
	s_delay_alu instid0(VALU_DEP_1) | instskip(NEXT) | instid1(VALU_DEP_1)
	v_add_f32_e32 v27, v33, v28
	v_dual_sub_f32 v32, v30, v27 :: v_dual_sub_f32 v33, v27, v33
	s_delay_alu instid0(VALU_DEP_1) | instskip(NEXT) | instid1(VALU_DEP_2)
	v_sub_f32_e32 v28, v33, v28
	v_sub_f32_e32 v30, v30, v32
	s_delay_alu instid0(VALU_DEP_1) | instskip(NEXT) | instid1(VALU_DEP_1)
	v_sub_f32_e32 v27, v30, v27
	v_add_f32_e32 v27, v28, v27
	s_delay_alu instid0(VALU_DEP_1) | instskip(NEXT) | instid1(VALU_DEP_1)
	v_add_f32_e32 v27, v32, v27
	v_mul_f32_e32 v27, v29, v27
	s_delay_alu instid0(VALU_DEP_1) | instskip(NEXT) | instid1(VALU_DEP_1)
	v_add_f32_e32 v29, v31, v27
	v_sub_f32_e32 v28, v29, v31
	v_mul_f32_e32 v30, v29, v29
	s_delay_alu instid0(VALU_DEP_1) | instskip(NEXT) | instid1(VALU_DEP_3)
	v_fma_f32 v32, v29, v29, -v30
	v_sub_f32_e32 v31, v27, v28
	s_delay_alu instid0(VALU_DEP_1) | instskip(NEXT) | instid1(VALU_DEP_1)
	v_add_f32_e32 v27, v31, v31
	v_fmac_f32_e32 v32, v29, v27
	v_cvt_f64_f32_e64 v[27:28], |v26|
	s_delay_alu instid0(VALU_DEP_2) | instskip(NEXT) | instid1(VALU_DEP_1)
	v_add_f32_e32 v33, v30, v32
	v_fmaak_f32 v34, s17, v33, 0x3e91f4c4
	v_sub_f32_e32 v30, v33, v30
	s_delay_alu instid0(VALU_DEP_2) | instskip(NEXT) | instid1(VALU_DEP_2)
	v_fmaak_f32 v34, v33, v34, 0x3ecccdef
	v_dual_sub_f32 v30, v32, v30 :: v_dual_mul_f32 v37, v29, v33
	s_delay_alu instid0(VALU_DEP_2) | instskip(NEXT) | instid1(VALU_DEP_1)
	v_mul_f32_e32 v35, v33, v34
	v_fma_f32 v32, v33, v34, -v35
	s_delay_alu instid0(VALU_DEP_1) | instskip(NEXT) | instid1(VALU_DEP_1)
	v_fmac_f32_e32 v32, v30, v34
	v_add_f32_e32 v34, v35, v32
	v_frexp_exp_i32_f64_e32 v27, v[27:28]
	s_delay_alu instid0(VALU_DEP_2) | instskip(NEXT) | instid1(VALU_DEP_1)
	v_sub_f32_e32 v35, v34, v35
	v_sub_f32_e32 v28, v32, v35
	v_fma_f32 v35, v33, v29, -v37
	s_delay_alu instid0(VALU_DEP_1) | instskip(SKIP_1) | instid1(VALU_DEP_2)
	v_dual_fmac_f32 v35, v33, v31 :: v_dual_add_f32 v36, 0x3f2aaaaa, v34
	v_ldexp_f32 v31, v31, 1
	v_dual_fmac_f32 v35, v30, v29 :: v_dual_add_f32 v32, 0xbf2aaaaa, v36
	v_add_f32_e32 v28, 0x31739010, v28
	s_delay_alu instid0(VALU_DEP_2) | instskip(NEXT) | instid1(VALU_DEP_1)
	v_sub_f32_e32 v32, v34, v32
	v_add_f32_e32 v28, v28, v32
	s_delay_alu instid0(VALU_DEP_4) | instskip(SKIP_2) | instid1(VALU_DEP_2)
	v_add_f32_e32 v32, v37, v35
	v_subrev_co_ci_u32_e64 v27, null, 0, v27, vcc_lo
	v_cmp_neq_f32_e32 vcc_lo, 1.0, v26
	v_cvt_f32_i32_e32 v27, v27
	v_add_f32_e32 v30, v36, v28
	s_delay_alu instid0(VALU_DEP_1) | instskip(SKIP_1) | instid1(VALU_DEP_1)
	v_sub_f32_e32 v33, v36, v30
	v_sub_f32_e32 v36, v32, v37
	v_dual_add_f32 v28, v28, v33 :: v_dual_sub_f32 v35, v35, v36
	v_mul_f32_e32 v34, v32, v30
	s_delay_alu instid0(VALU_DEP_1) | instskip(NEXT) | instid1(VALU_DEP_1)
	v_fma_f32 v33, v32, v30, -v34
	v_fmac_f32_e32 v33, v32, v28
	v_ldexp_f32 v28, v29, 1
	s_delay_alu instid0(VALU_DEP_2) | instskip(NEXT) | instid1(VALU_DEP_1)
	v_fmac_f32_e32 v33, v35, v30
	v_add_f32_e32 v29, v34, v33
	s_delay_alu instid0(VALU_DEP_1) | instskip(SKIP_2) | instid1(VALU_DEP_3)
	v_sub_f32_e32 v32, v29, v34
	v_mul_f32_e32 v34, 0x3f317218, v27
	v_add_f32_e32 v30, v28, v29
	v_sub_f32_e32 v32, v33, v32
	s_delay_alu instid0(VALU_DEP_3) | instskip(NEXT) | instid1(VALU_DEP_1)
	v_fma_f32 v33, 0x3f317218, v27, -v34
	v_dual_fmac_f32 v33, 0xb102e308, v27 :: v_dual_sub_f32 v28, v30, v28
	s_delay_alu instid0(VALU_DEP_1) | instskip(NEXT) | instid1(VALU_DEP_4)
	v_sub_f32_e32 v28, v29, v28
	v_add_f32_e32 v29, v31, v32
	s_delay_alu instid0(VALU_DEP_1) | instskip(NEXT) | instid1(VALU_DEP_1)
	v_add_f32_e32 v27, v29, v28
	v_add_f32_e32 v29, v30, v27
	;; [unrolled: 1-line block ×3, first 2 shown]
	s_delay_alu instid0(VALU_DEP_1) | instskip(NEXT) | instid1(VALU_DEP_1)
	v_add_f32_e32 v31, v28, v29
	v_sub_f32_e32 v32, v31, v28
	s_delay_alu instid0(VALU_DEP_1) | instskip(SKIP_1) | instid1(VALU_DEP_2)
	v_dual_sub_f32 v35, v31, v32 :: v_dual_sub_f32 v30, v29, v30
	v_sub_f32_e32 v29, v29, v32
	v_sub_f32_e32 v27, v27, v30
	;; [unrolled: 1-line block ×3, first 2 shown]
	s_delay_alu instid0(VALU_DEP_1) | instskip(NEXT) | instid1(VALU_DEP_1)
	v_dual_sub_f32 v28, v28, v35 :: v_dual_sub_f32 v33, v33, v34
	v_add_f32_e32 v28, v29, v28
	s_delay_alu instid0(VALU_DEP_2) | instskip(NEXT) | instid1(VALU_DEP_1)
	v_add_f32_e32 v30, v33, v27
	v_sub_f32_e32 v29, v30, v33
	s_delay_alu instid0(VALU_DEP_3) | instskip(NEXT) | instid1(VALU_DEP_2)
	v_add_f32_e32 v28, v30, v28
	v_sub_f32_e32 v30, v30, v29
	s_delay_alu instid0(VALU_DEP_2) | instskip(SKIP_1) | instid1(VALU_DEP_2)
	v_add_f32_e32 v32, v31, v28
	v_sub_f32_e32 v27, v27, v29
	v_dual_sub_f32 v29, v33, v30 :: v_dual_sub_f32 v30, v32, v31
	s_delay_alu instid0(VALU_DEP_1) | instskip(SKIP_2) | instid1(VALU_DEP_2)
	v_dual_add_f32 v27, v27, v29 :: v_dual_sub_f32 v28, v28, v30
	s_wait_alu 0xfffd
	v_cndmask_b32_e64 v29, 1.0, s10, vcc_lo
	v_add_f32_e32 v27, v27, v28
	s_delay_alu instid0(VALU_DEP_2) | instskip(SKIP_1) | instid1(VALU_DEP_3)
	v_cmp_neq_f32_e64 s19, v29, |v29|
	v_cmp_gt_f32_e64 s2, 0, v29
	v_add_f32_e32 v28, v32, v27
	s_xor_b32 s18, s18, s19
	s_delay_alu instid0(VALU_DEP_1) | instskip(SKIP_1) | instid1(VALU_DEP_2)
	v_sub_f32_e32 v30, v28, v32
	v_mul_f32_e32 v31, v29, v28
	v_sub_f32_e32 v27, v27, v30
	s_delay_alu instid0(VALU_DEP_2) | instskip(SKIP_1) | instid1(VALU_DEP_2)
	v_fma_f32 v28, v29, v28, -v31
	v_cmp_class_f32_e64 vcc_lo, v31, 0x204
	v_fmac_f32_e32 v28, v29, v27
	s_delay_alu instid0(VALU_DEP_1) | instskip(SKIP_1) | instid1(VALU_DEP_1)
	v_add_f32_e32 v27, v31, v28
	s_wait_alu 0xfffd
	v_cndmask_b32_e32 v30, v27, v31, vcc_lo
	v_sub_f32_e32 v27, v27, v31
	s_delay_alu instid0(VALU_DEP_2) | instskip(NEXT) | instid1(VALU_DEP_2)
	v_cmp_eq_f32_e32 vcc_lo, 0x42b17218, v30
	v_sub_f32_e32 v27, v28, v27
	v_cmp_neq_f32_e64 s0, 0x7f800000, |v30|
	s_wait_alu 0xfffd
	v_cndmask_b32_e64 v32, 0, 0x37000000, vcc_lo
	v_cmp_eq_f32_e32 vcc_lo, 0, v26
	s_wait_alu 0xf1ff
	v_cndmask_b32_e64 v27, 0, v27, s0
	s_delay_alu instid0(VALU_DEP_3) | instskip(SKIP_1) | instid1(VALU_DEP_2)
	v_sub_f32_e32 v33, v30, v32
	v_trunc_f32_e32 v30, v29
	v_dual_add_f32 v27, v32, v27 :: v_dual_mul_f32 v34, 0x3fb8aa3b, v33
	v_cmp_ngt_f32_e64 s0, 0xc2ce8ed0, v33
	s_delay_alu instid0(VALU_DEP_2) | instskip(SKIP_1) | instid1(VALU_DEP_1)
	v_fma_f32 v35, 0x3fb8aa3b, v33, -v34
	v_rndne_f32_e32 v36, v34
	v_dual_fmac_f32 v35, 0x32a5705f, v33 :: v_dual_sub_f32 v34, v34, v36
	v_cvt_i32_f32_e32 v31, v36
	s_delay_alu instid0(VALU_DEP_2) | instskip(NEXT) | instid1(VALU_DEP_1)
	v_add_f32_e32 v34, v34, v35
	v_exp_f32_e32 v34, v34
	s_delay_alu instid0(TRANS32_DEP_1) | instskip(SKIP_2) | instid1(VALU_DEP_2)
	v_ldexp_f32 v28, v34, v31
	v_mul_f32_e32 v31, 0.5, v29
	s_wait_alu 0xf1ff
	v_cndmask_b32_e64 v28, 0, v28, s0
	s_delay_alu instid0(VALU_DEP_2) | instskip(SKIP_1) | instid1(VALU_DEP_2)
	v_trunc_f32_e32 v34, v31
	v_cmp_nlt_f32_e64 s0, 0x42b17218, v33
	v_cmp_neq_f32_e64 s1, v34, v31
	s_wait_alu 0xf1ff
	s_delay_alu instid0(VALU_DEP_2) | instskip(SKIP_3) | instid1(VALU_DEP_3)
	v_cndmask_b32_e64 v28, 0x7f800000, v28, s0
	v_cmp_eq_f32_e64 s0, v30, v29
	s_wait_alu 0xfffe
	v_cndmask_b32_e64 v30, 0x7f800000, 0, s18
	v_fma_f32 v27, v28, v27, v28
	s_and_b32 s0, s0, s1
	v_cmp_class_f32_e64 s1, v28, 0x204
	s_wait_alu 0xfffe
	v_cndmask_b32_e64 v31, 1.0, v26, s0
	s_wait_alu 0xf1ff
	s_delay_alu instid0(VALU_DEP_2)
	v_cndmask_b32_e64 v27, v27, v28, s1
	s_xor_b32 s1, vcc_lo, s2
	s_wait_alu 0xfffe
	v_cndmask_b32_e64 v28, 0x7f800000, 0, s1
	v_cmp_neq_f32_e64 s1, |v26|, 1.0
	v_bfi_b32 v27, 0x7fffffff, v27, v31
	v_cndmask_b32_e64 v31, 0, v26, s0
	v_cmp_class_f32_e64 s0, v29, 0x204
	s_wait_alu 0xf1ff
	v_cndmask_b32_e64 v30, 1.0, v30, s1
	v_cmp_class_f32_e64 s1, v26, 0x204
	v_bfi_b32 v28, 0x7fffffff, v28, v31
	s_delay_alu instid0(VALU_DEP_3) | instskip(SKIP_2) | instid1(VALU_DEP_1)
	v_cndmask_b32_e64 v27, v27, v30, s0
	s_or_b32 vcc_lo, vcc_lo, s1
	s_wait_alu 0xfffe
	v_cndmask_b32_e32 v27, v27, v28, vcc_lo
	v_cmp_o_f32_e32 vcc_lo, v26, v29
	s_wait_alu 0xfffd
	s_delay_alu instid0(VALU_DEP_2)
	v_cndmask_b32_e32 v26, 0x7fc00000, v27, vcc_lo
.LBB1_28:                               ;   in Loop: Header=BB1_29 Depth=1
	v_cvt_f32_u32_e32 v2, v2
	v_cvt_f32_u32_e32 v25, v25
	v_add_co_u32 v4, s0, v4, v6
	s_wait_alu 0xf1ff
	v_add_co_ci_u32_e64 v5, null, v5, v7, s0
	v_dual_sub_f32 v27, v2, v11 :: v_dual_add_f32 v28, 1.0, v2
	v_cmp_gt_f32_e32 vcc_lo, v11, v2
	s_delay_alu instid0(VALU_DEP_2) | instskip(NEXT) | instid1(VALU_DEP_1)
	v_dual_add_f32 v27, 1.0, v27 :: v_dual_add_nc_u32 v0, 32, v0
	v_mul_f32_e32 v27, v27, v26
	s_wait_alu 0xfffd
	s_delay_alu instid0(VALU_DEP_1) | instskip(SKIP_1) | instid1(VALU_DEP_2)
	v_dual_sub_f32 v29, v13, v28 :: v_dual_cndmask_b32 v2, v26, v27
	v_subrev_f32_e32 v26, s3, v25
	v_add_f32_e32 v29, 1.0, v29
	v_cmp_gt_f32_e32 vcc_lo, v28, v13
	s_delay_alu instid0(VALU_DEP_3) | instskip(NEXT) | instid1(VALU_DEP_3)
	v_add_f32_e32 v26, 1.0, v26
	v_mul_f32_e32 v27, v29, v2
	s_wait_alu 0xfffd
	s_delay_alu instid0(VALU_DEP_1) | instskip(NEXT) | instid1(VALU_DEP_1)
	v_dual_add_f32 v29, 1.0, v25 :: v_dual_cndmask_b32 v2, v2, v27
	v_sub_f32_e32 v27, s5, v29
	v_cmp_gt_f32_e32 vcc_lo, s3, v25
	s_delay_alu instid0(VALU_DEP_2) | instskip(SKIP_1) | instid1(VALU_DEP_1)
	v_dual_mul_f32 v26, v26, v2 :: v_dual_add_f32 v27, 1.0, v27
	s_wait_alu 0xfffd
	v_cndmask_b32_e32 v2, v2, v26, vcc_lo
	v_cmp_lt_f32_e32 vcc_lo, s5, v29
	s_delay_alu instid0(VALU_DEP_2) | instskip(SKIP_1) | instid1(VALU_DEP_1)
	v_mul_f32_e32 v25, v27, v2
	s_wait_alu 0xfffd
	v_cndmask_b32_e32 v2, v2, v25, vcc_lo
	v_cmp_ge_u32_e32 vcc_lo, v0, v16
	s_delay_alu instid0(VALU_DEP_2)
	v_fmac_f32_e32 v3, v2, v23
	v_fmac_f32_e32 v17, v2, v22
	v_dual_fmac_f32 v18, v2, v24 :: v_dual_add_f32 v19, v19, v2
	s_or_b32 s9, vcc_lo, s9
	s_wait_alu 0xfffe
	s_and_not1_b32 exec_lo, exec_lo, s9
	s_cbranch_execz .LBB1_31
.LBB1_29:                               ; =>This Inner Loop Header: Depth=1
	s_delay_alu instid0(VALU_DEP_1) | instskip(SKIP_1) | instid1(VALU_DEP_2)
	v_mad_co_u64_u32 v[22:23], null, v20, v5, v[0:1]
	v_add_nc_u32_e32 v2, 1, v5
	v_cmp_ge_u32_e32 vcc_lo, v22, v15
	s_wait_alu 0xfffd
	s_delay_alu instid0(VALU_DEP_2) | instskip(NEXT) | instid1(VALU_DEP_1)
	v_dual_cndmask_b32 v2, v5, v2 :: v_dual_add_nc_u32 v23, v22, v21
	v_dual_cndmask_b32 v22, v22, v23 :: v_dual_add_nc_u32 v23, 1, v2
	s_delay_alu instid0(VALU_DEP_1) | instskip(SKIP_1) | instid1(VALU_DEP_2)
	v_cmp_ge_u32_e32 vcc_lo, v22, v15
	s_wait_alu 0xfffd
	v_cndmask_b32_e32 v2, v2, v23, vcc_lo
	s_delay_alu instid0(VALU_DEP_1) | instskip(SKIP_1) | instid1(VALU_DEP_2)
	v_mul_lo_u32 v22, v20, v2
	v_add_nc_u32_e32 v25, s7, v2
	v_add3_u32 v2, v14, v0, v22
	s_delay_alu instid0(VALU_DEP_1) | instskip(NEXT) | instid1(VALU_DEP_1)
	v_mad_co_u64_u32 v[22:23], null, v25, s6, v[2:3]
	v_mad_co_u64_u32 v[22:23], null, v22, 3, s[14:15]
	s_clause 0x1
	global_load_u16 v24, v[22:23], off
	global_load_u8 v26, v[22:23], off offset:2
	s_wait_loadcnt 0x1
	v_cvt_f32_ubyte1_e32 v22, v24
	v_cvt_f32_ubyte0_e32 v23, v24
	s_wait_loadcnt 0x0
	v_cvt_f32_ubyte0_e32 v24, v26
	s_delay_alu instid0(VALU_DEP_2) | instskip(NEXT) | instid1(VALU_DEP_1)
	v_dual_sub_f32 v27, v9, v22 :: v_dual_sub_f32 v26, v8, v23
	v_dual_sub_f32 v28, v10, v24 :: v_dual_mul_f32 v27, v27, v27
	s_delay_alu instid0(VALU_DEP_1) | instskip(NEXT) | instid1(VALU_DEP_1)
	v_fmac_f32_e32 v27, v26, v26
	v_fmac_f32_e32 v27, v28, v28
	s_delay_alu instid0(VALU_DEP_1) | instskip(SKIP_2) | instid1(VALU_DEP_1)
	v_cmp_gt_f32_e32 vcc_lo, 0xf800000, v27
	v_mul_f32_e32 v26, 0x4f800000, v27
	s_wait_alu 0xfffd
	v_cndmask_b32_e32 v26, v27, v26, vcc_lo
	s_delay_alu instid0(VALU_DEP_1) | instskip(NEXT) | instid1(TRANS32_DEP_1)
	v_sqrt_f32_e32 v27, v26
	v_add_nc_u32_e32 v28, -1, v27
	v_add_nc_u32_e32 v29, 1, v27
	s_delay_alu instid0(VALU_DEP_2) | instskip(NEXT) | instid1(VALU_DEP_2)
	v_fma_f32 v30, -v28, v27, v26
	v_fma_f32 v31, -v29, v27, v26
	s_delay_alu instid0(VALU_DEP_2) | instskip(SKIP_1) | instid1(VALU_DEP_1)
	v_cmp_ge_f32_e64 s0, 0, v30
	s_wait_alu 0xf1ff
	v_cndmask_b32_e64 v27, v27, v28, s0
	s_delay_alu instid0(VALU_DEP_3) | instskip(SKIP_1) | instid1(VALU_DEP_1)
	v_cmp_lt_f32_e64 s0, 0, v31
	s_wait_alu 0xf1ff
	v_cndmask_b32_e64 v27, v27, v29, s0
	s_delay_alu instid0(VALU_DEP_1) | instskip(NEXT) | instid1(VALU_DEP_1)
	v_mul_f32_e32 v28, 0x37800000, v27
	v_cndmask_b32_e32 v27, v27, v28, vcc_lo
	v_cmp_class_f32_e64 vcc_lo, v26, 0x260
	s_wait_alu 0xfffd
	s_delay_alu instid0(VALU_DEP_2) | instskip(NEXT) | instid1(VALU_DEP_1)
	v_cndmask_b32_e32 v26, v27, v26, vcc_lo
	v_div_scale_f32 v27, null, 0x43dcd623, 0x43dcd623, v26
	s_delay_alu instid0(VALU_DEP_1) | instskip(NEXT) | instid1(TRANS32_DEP_1)
	v_rcp_f32_e32 v28, v27
	v_fma_f32 v29, -v27, v28, 1.0
	s_delay_alu instid0(VALU_DEP_1) | instskip(SKIP_1) | instid1(VALU_DEP_1)
	v_fmac_f32_e32 v28, v29, v28
	v_div_scale_f32 v29, vcc_lo, v26, 0x43dcd623, v26
	v_mul_f32_e32 v30, v29, v28
	s_delay_alu instid0(VALU_DEP_1) | instskip(NEXT) | instid1(VALU_DEP_1)
	v_fma_f32 v31, -v27, v30, v29
	v_fmac_f32_e32 v30, v31, v28
	s_delay_alu instid0(VALU_DEP_1) | instskip(SKIP_1) | instid1(VALU_DEP_1)
	v_fma_f32 v27, -v27, v30, v29
	s_wait_alu 0xfffd
	v_div_fmas_f32 v27, v27, v28, v30
	s_and_not1_b32 vcc_lo, exec_lo, s16
	s_delay_alu instid0(VALU_DEP_1)
	v_div_fixup_f32 v26, v27, 0x43dcd623, v26
	s_wait_alu 0xfffe
	s_cbranch_vccz .LBB1_27
; %bb.30:                               ;   in Loop: Header=BB1_29 Depth=1
	s_delay_alu instid0(VALU_DEP_1)
	v_cndmask_b32_e64 v26, v26, 1.0, s11
	s_branch .LBB1_28
.LBB1_31:
	s_or_b32 exec_lo, exec_lo, s9
.LBB1_32:
	s_delay_alu instid0(SALU_CYCLE_1) | instskip(SKIP_1) | instid1(VALU_DEP_1)
	s_or_b32 exec_lo, exec_lo, s8
	v_mbcnt_lo_u32_b32 v0, -1, 0
	v_lshl_or_b32 v2, v0, 2, 64
	v_cmp_lt_u32_e32 vcc_lo, 23, v0
	ds_bpermute_b32 v4, v2, v3
	ds_bpermute_b32 v5, v2, v17
	s_wait_alu 0xfffd
	v_cndmask_b32_e64 v7, 8, 0, vcc_lo
	ds_bpermute_b32 v6, v2, v18
	ds_bpermute_b32 v2, v2, v19
	v_cmp_lt_u32_e32 vcc_lo, 27, v0
	v_add_lshl_u32 v7, v7, v0, 2
	s_wait_alu 0xfffd
	v_cndmask_b32_e64 v14, 4, 0, vcc_lo
	v_cmp_lt_u32_e32 vcc_lo, 29, v0
	s_delay_alu instid0(VALU_DEP_2)
	v_add_lshl_u32 v14, v14, v0, 2
	s_wait_dscnt 0x2
	v_dual_add_f32 v3, v3, v4 :: v_dual_add_f32 v4, v17, v5
	ds_bpermute_b32 v11, v7, v4
	s_wait_dscnt 0x2
	v_add_f32_e32 v5, v18, v6
	ds_bpermute_b32 v6, v7, v3
	s_wait_dscnt 0x1
	v_add_f32_e32 v4, v4, v11
	ds_bpermute_b32 v13, v7, v5
	s_wait_dscnt 0x0
	v_dual_add_f32 v2, v19, v2 :: v_dual_add_f32 v5, v5, v13
	ds_bpermute_b32 v7, v7, v2
	v_add_f32_e32 v3, v3, v6
	ds_bpermute_b32 v11, v14, v5
	s_wait_dscnt 0x1
	v_add_f32_e32 v2, v2, v7
	ds_bpermute_b32 v6, v14, v3
	ds_bpermute_b32 v7, v14, v4
	;; [unrolled: 1-line block ×3, first 2 shown]
	s_wait_alu 0xfffd
	v_cndmask_b32_e64 v14, 2, 0, vcc_lo
	s_wait_dscnt 0x3
	v_add_f32_e32 v5, v5, v11
	v_cmp_ne_u32_e32 vcc_lo, 31, v0
	s_delay_alu instid0(VALU_DEP_3)
	v_add_lshl_u32 v14, v14, v0, 2
	s_wait_alu 0xfffd
	v_add_co_ci_u32_e64 v0, null, 0, v0, vcc_lo
	v_cmp_eq_u32_e32 vcc_lo, 0, v12
	s_wait_dscnt 0x1
	v_dual_add_f32 v3, v3, v6 :: v_dual_add_f32 v4, v4, v7
	s_wait_dscnt 0x0
	v_add_f32_e32 v2, v2, v13
	ds_bpermute_b32 v6, v14, v3
	ds_bpermute_b32 v7, v14, v4
	;; [unrolled: 1-line block ×4, first 2 shown]
	s_wait_dscnt 0x3
	v_dual_add_f32 v3, v3, v6 :: v_dual_lshlrev_b32 v14, 2, v0
	s_wait_dscnt 0x2
	v_add_f32_e32 v4, v4, v7
	s_wait_dscnt 0x0
	v_dual_add_f32 v5, v5, v11 :: v_dual_add_f32 v0, v2, v13
	ds_bpermute_b32 v6, v14, v3
	ds_bpermute_b32 v7, v14, v4
	;; [unrolled: 1-line block ×4, first 2 shown]
	s_and_b32 exec_lo, exec_lo, vcc_lo
	s_cbranch_execz .LBB1_38
; %bb.33:
	s_wait_dscnt 0x0
	v_add_f32_e32 v0, v0, v2
                                        ; implicit-def: $vgpr2
	s_mov_b32 s0, exec_lo
	s_delay_alu instid0(VALU_DEP_1)
	v_cmpx_neq_f32_e32 0, v0
	s_wait_alu 0xfffe
	s_xor_b32 s2, exec_lo, s0
	s_cbranch_execz .LBB1_35
; %bb.34:
	v_dual_add_f32 v2, v3, v6 :: v_dual_add_f32 v3, v4, v7
	s_delay_alu instid0(VALU_DEP_1) | instskip(SKIP_1) | instid1(VALU_DEP_2)
	v_div_scale_f32 v6, null, v0, v0, v3
	v_div_scale_f32 v12, s0, v3, v0, v3
	v_rcp_f32_e32 v9, v6
	s_delay_alu instid0(TRANS32_DEP_1) | instskip(SKIP_3) | instid1(VALU_DEP_4)
	v_fma_f32 v14, -v6, v9, 1.0
	v_add_f32_e32 v4, v5, v11
	v_div_scale_f32 v5, null, v0, v0, v2
	v_div_scale_f32 v11, vcc_lo, v2, v0, v2
	v_fmac_f32_e32 v9, v14, v9
	s_delay_alu instid0(VALU_DEP_4) | instskip(NEXT) | instid1(VALU_DEP_4)
	v_div_scale_f32 v7, null, v0, v0, v4
	v_rcp_f32_e32 v8, v5
	v_div_scale_f32 v16, s1, v4, v0, v4
	s_delay_alu instid0(VALU_DEP_2) | instskip(SKIP_1) | instid1(VALU_DEP_1)
	v_rcp_f32_e32 v10, v7
	v_mul_f32_e32 v14, v12, v9
	v_fma_f32 v18, -v6, v14, v12
	s_delay_alu instid0(TRANS32_DEP_2) | instskip(NEXT) | instid1(TRANS32_DEP_1)
	v_fma_f32 v13, -v5, v8, 1.0
	v_fma_f32 v15, -v7, v10, 1.0
	s_delay_alu instid0(VALU_DEP_1) | instskip(NEXT) | instid1(VALU_DEP_1)
	v_fmac_f32_e32 v10, v15, v10
	v_dual_fmac_f32 v8, v13, v8 :: v_dual_mul_f32 v15, v16, v10
	s_delay_alu instid0(VALU_DEP_1) | instskip(NEXT) | instid1(VALU_DEP_2)
	v_mul_f32_e32 v13, v11, v8
	v_fma_f32 v19, -v7, v15, v16
	s_delay_alu instid0(VALU_DEP_2) | instskip(NEXT) | instid1(VALU_DEP_1)
	v_fma_f32 v17, -v5, v13, v11
	v_dual_fmac_f32 v13, v17, v8 :: v_dual_fmac_f32 v14, v18, v9
	s_delay_alu instid0(VALU_DEP_3) | instskip(NEXT) | instid1(VALU_DEP_2)
	v_fmac_f32_e32 v15, v19, v10
	v_fma_f32 v5, -v5, v13, v11
	s_delay_alu instid0(VALU_DEP_3) | instskip(NEXT) | instid1(VALU_DEP_3)
	v_fma_f32 v6, -v6, v14, v12
	v_fma_f32 v7, -v7, v15, v16
	s_wait_alu 0xfffd
	s_delay_alu instid0(VALU_DEP_3)
	v_div_fmas_f32 v5, v5, v8, v13
	s_mov_b32 vcc_lo, s0
	s_wait_alu 0xfffe
	v_div_fmas_f32 v6, v6, v9, v14
	s_mov_b32 vcc_lo, s1
	v_div_fixup_f32 v8, v5, v0, v2
	s_wait_alu 0xfffe
	v_div_fmas_f32 v7, v7, v10, v15
                                        ; implicit-def: $vgpr9
                                        ; implicit-def: $vgpr10
	v_div_fixup_f32 v3, v6, v0, v3
	s_delay_alu instid0(VALU_DEP_2) | instskip(NEXT) | instid1(VALU_DEP_2)
	v_div_fixup_f32 v4, v7, v0, v4
	v_cvt_i32_f32_e32 v3, v3
	s_delay_alu instid0(VALU_DEP_2) | instskip(NEXT) | instid1(VALU_DEP_1)
	v_cvt_i32_f32_e32 v4, v4
	v_lshlrev_b32_e32 v4, 16, v4
	s_delay_alu instid0(VALU_DEP_1)
	v_lshl_or_b32 v2, v3, 8, v4
.LBB1_35:
	s_wait_alu 0xfffe
	s_and_not1_saveexec_b32 s0, s2
; %bb.36:
	v_cvt_i32_f32_e32 v0, v10
	v_cvt_i32_f32_e32 v2, v9
	s_delay_alu instid0(VALU_DEP_2) | instskip(NEXT) | instid1(VALU_DEP_1)
	v_lshlrev_b32_e32 v0, 16, v0
	v_lshl_or_b32 v2, v2, 8, v0
; %bb.37:
	s_wait_alu 0xfffe
	s_or_b32 exec_lo, exec_lo, s0
	s_delay_alu instid0(VALU_DEP_1) | instskip(SKIP_1) | instid1(VALU_DEP_1)
	v_mad_co_u64_u32 v[0:1], null, s4, ttmp7, v[1:2]
	v_cvt_i32_f32_e32 v3, v8
	v_or_b32_e32 v3, v2, v3
	s_delay_alu instid0(VALU_DEP_3)
	v_mad_co_u64_u32 v[0:1], null, v0, 3, s[12:13]
	s_clause 0x1
	global_store_d16_hi_b8 v[0:1], v2, off offset:2
	global_store_b16 v[0:1], v3, off
.LBB1_38:
	s_endpgm
	.section	.rodata,"a",@progbits
	.p2align	6, 0x0
	.amdhsa_kernel _Z18kernelDownsamplingPK15HIP_vector_typeIhLj3EES2_6ParamsPS0_
		.amdhsa_group_segment_fixed_size 0
		.amdhsa_private_segment_fixed_size 0
		.amdhsa_kernarg_size 56
		.amdhsa_user_sgpr_count 2
		.amdhsa_user_sgpr_dispatch_ptr 0
		.amdhsa_user_sgpr_queue_ptr 0
		.amdhsa_user_sgpr_kernarg_segment_ptr 1
		.amdhsa_user_sgpr_dispatch_id 0
		.amdhsa_user_sgpr_private_segment_size 0
		.amdhsa_wavefront_size32 1
		.amdhsa_uses_dynamic_stack 0
		.amdhsa_enable_private_segment 0
		.amdhsa_system_sgpr_workgroup_id_x 1
		.amdhsa_system_sgpr_workgroup_id_y 1
		.amdhsa_system_sgpr_workgroup_id_z 0
		.amdhsa_system_sgpr_workgroup_info 0
		.amdhsa_system_vgpr_workitem_id 0
		.amdhsa_next_free_vgpr 38
		.amdhsa_next_free_sgpr 20
		.amdhsa_reserve_vcc 1
		.amdhsa_float_round_mode_32 0
		.amdhsa_float_round_mode_16_64 0
		.amdhsa_float_denorm_mode_32 3
		.amdhsa_float_denorm_mode_16_64 3
		.amdhsa_fp16_overflow 0
		.amdhsa_workgroup_processor_mode 1
		.amdhsa_memory_ordered 1
		.amdhsa_forward_progress 1
		.amdhsa_inst_pref_size 35
		.amdhsa_round_robin_scheduling 0
		.amdhsa_exception_fp_ieee_invalid_op 0
		.amdhsa_exception_fp_denorm_src 0
		.amdhsa_exception_fp_ieee_div_zero 0
		.amdhsa_exception_fp_ieee_overflow 0
		.amdhsa_exception_fp_ieee_underflow 0
		.amdhsa_exception_fp_ieee_inexact 0
		.amdhsa_exception_int_div_zero 0
	.end_amdhsa_kernel
	.text
.Lfunc_end1:
	.size	_Z18kernelDownsamplingPK15HIP_vector_typeIhLj3EES2_6ParamsPS0_, .Lfunc_end1-_Z18kernelDownsamplingPK15HIP_vector_typeIhLj3EES2_6ParamsPS0_
                                        ; -- End function
	.set _Z18kernelDownsamplingPK15HIP_vector_typeIhLj3EES2_6ParamsPS0_.num_vgpr, 38
	.set _Z18kernelDownsamplingPK15HIP_vector_typeIhLj3EES2_6ParamsPS0_.num_agpr, 0
	.set _Z18kernelDownsamplingPK15HIP_vector_typeIhLj3EES2_6ParamsPS0_.numbered_sgpr, 20
	.set _Z18kernelDownsamplingPK15HIP_vector_typeIhLj3EES2_6ParamsPS0_.num_named_barrier, 0
	.set _Z18kernelDownsamplingPK15HIP_vector_typeIhLj3EES2_6ParamsPS0_.private_seg_size, 0
	.set _Z18kernelDownsamplingPK15HIP_vector_typeIhLj3EES2_6ParamsPS0_.uses_vcc, 1
	.set _Z18kernelDownsamplingPK15HIP_vector_typeIhLj3EES2_6ParamsPS0_.uses_flat_scratch, 0
	.set _Z18kernelDownsamplingPK15HIP_vector_typeIhLj3EES2_6ParamsPS0_.has_dyn_sized_stack, 0
	.set _Z18kernelDownsamplingPK15HIP_vector_typeIhLj3EES2_6ParamsPS0_.has_recursion, 0
	.set _Z18kernelDownsamplingPK15HIP_vector_typeIhLj3EES2_6ParamsPS0_.has_indirect_call, 0
	.section	.AMDGPU.csdata,"",@progbits
; Kernel info:
; codeLenInByte = 4468
; TotalNumSgprs: 22
; NumVgprs: 38
; ScratchSize: 0
; MemoryBound: 0
; FloatMode: 240
; IeeeMode: 1
; LDSByteSize: 0 bytes/workgroup (compile time only)
; SGPRBlocks: 0
; VGPRBlocks: 4
; NumSGPRsForWavesPerEU: 22
; NumVGPRsForWavesPerEU: 38
; Occupancy: 16
; WaveLimiterHint : 0
; COMPUTE_PGM_RSRC2:SCRATCH_EN: 0
; COMPUTE_PGM_RSRC2:USER_SGPR: 2
; COMPUTE_PGM_RSRC2:TRAP_HANDLER: 0
; COMPUTE_PGM_RSRC2:TGID_X_EN: 1
; COMPUTE_PGM_RSRC2:TGID_Y_EN: 1
; COMPUTE_PGM_RSRC2:TGID_Z_EN: 0
; COMPUTE_PGM_RSRC2:TIDIG_COMP_CNT: 0
	.text
	.p2alignl 7, 3214868480
	.fill 96, 4, 3214868480
	.section	.AMDGPU.gpr_maximums,"",@progbits
	.set amdgpu.max_num_vgpr, 0
	.set amdgpu.max_num_agpr, 0
	.set amdgpu.max_num_sgpr, 0
	.text
	.type	__hip_cuid_e91d68b8dea43cde,@object ; @__hip_cuid_e91d68b8dea43cde
	.section	.bss,"aw",@nobits
	.globl	__hip_cuid_e91d68b8dea43cde
__hip_cuid_e91d68b8dea43cde:
	.byte	0                               ; 0x0
	.size	__hip_cuid_e91d68b8dea43cde, 1

	.ident	"AMD clang version 22.0.0git (https://github.com/RadeonOpenCompute/llvm-project roc-7.2.4 26084 f58b06dce1f9c15707c5f808fd002e18c2accf7e)"
	.section	".note.GNU-stack","",@progbits
	.addrsig
	.addrsig_sym __hip_cuid_e91d68b8dea43cde
	.amdgpu_metadata
---
amdhsa.kernels:
  - .args:
      - .actual_access:  read_only
        .address_space:  global
        .offset:         0
        .size:           8
        .value_kind:     global_buffer
      - .actual_access:  write_only
        .address_space:  global
        .offset:         8
        .size:           8
        .value_kind:     global_buffer
      - .offset:         16
        .size:           32
        .value_kind:     by_value
    .group_segment_fixed_size: 0
    .kernarg_segment_align: 8
    .kernarg_segment_size: 48
    .language:       OpenCL C
    .language_version:
      - 2
      - 0
    .max_flat_workgroup_size: 1024
    .name:           _Z14kernelGuidancePK15HIP_vector_typeIhLj3EEPS0_6Params
    .private_segment_fixed_size: 0
    .sgpr_count:     13
    .sgpr_spill_count: 0
    .symbol:         _Z14kernelGuidancePK15HIP_vector_typeIhLj3EEPS0_6Params.kd
    .uniform_work_group_size: 1
    .uses_dynamic_stack: false
    .vgpr_count:     27
    .vgpr_spill_count: 0
    .wavefront_size: 32
    .workgroup_processor_mode: 1
  - .args:
      - .actual_access:  read_only
        .address_space:  global
        .offset:         0
        .size:           8
        .value_kind:     global_buffer
      - .actual_access:  read_only
        .address_space:  global
        .offset:         8
        .size:           8
        .value_kind:     global_buffer
      - .offset:         16
        .size:           32
        .value_kind:     by_value
      - .actual_access:  write_only
        .address_space:  global
        .offset:         48
        .size:           8
        .value_kind:     global_buffer
    .group_segment_fixed_size: 0
    .kernarg_segment_align: 8
    .kernarg_segment_size: 56
    .language:       OpenCL C
    .language_version:
      - 2
      - 0
    .max_flat_workgroup_size: 1024
    .name:           _Z18kernelDownsamplingPK15HIP_vector_typeIhLj3EES2_6ParamsPS0_
    .private_segment_fixed_size: 0
    .sgpr_count:     22
    .sgpr_spill_count: 0
    .symbol:         _Z18kernelDownsamplingPK15HIP_vector_typeIhLj3EES2_6ParamsPS0_.kd
    .uniform_work_group_size: 1
    .uses_dynamic_stack: false
    .vgpr_count:     38
    .vgpr_spill_count: 0
    .wavefront_size: 32
    .workgroup_processor_mode: 1
amdhsa.target:   amdgcn-amd-amdhsa--gfx1201
amdhsa.version:
  - 1
  - 2
...

	.end_amdgpu_metadata
